;; amdgpu-corpus repo=ROCm/rocFFT kind=compiled arch=gfx906 opt=O3
	.text
	.amdgcn_target "amdgcn-amd-amdhsa--gfx906"
	.amdhsa_code_object_version 6
	.protected	fft_rtc_back_len90_factors_3_3_10_wgs_63_tpt_9_halfLds_sp_op_CI_CI_unitstride_sbrr_C2R_dirReg ; -- Begin function fft_rtc_back_len90_factors_3_3_10_wgs_63_tpt_9_halfLds_sp_op_CI_CI_unitstride_sbrr_C2R_dirReg
	.globl	fft_rtc_back_len90_factors_3_3_10_wgs_63_tpt_9_halfLds_sp_op_CI_CI_unitstride_sbrr_C2R_dirReg
	.p2align	8
	.type	fft_rtc_back_len90_factors_3_3_10_wgs_63_tpt_9_halfLds_sp_op_CI_CI_unitstride_sbrr_C2R_dirReg,@function
fft_rtc_back_len90_factors_3_3_10_wgs_63_tpt_9_halfLds_sp_op_CI_CI_unitstride_sbrr_C2R_dirReg: ; @fft_rtc_back_len90_factors_3_3_10_wgs_63_tpt_9_halfLds_sp_op_CI_CI_unitstride_sbrr_C2R_dirReg
; %bb.0:
	s_load_dwordx4 s[8:11], s[4:5], 0x58
	s_load_dwordx4 s[12:15], s[4:5], 0x0
	;; [unrolled: 1-line block ×3, first 2 shown]
	v_mul_u32_u24_e32 v1, 0x1c72, v0
	v_lshrrev_b32_e32 v1, 16, v1
	v_mad_u64_u32 v[3:4], s[0:1], s6, 7, v[1:2]
	v_mov_b32_e32 v5, 0
	v_mov_b32_e32 v1, 0
	;; [unrolled: 1-line block ×3, first 2 shown]
	s_waitcnt lgkmcnt(0)
	v_cmp_lt_u64_e64 s[0:1], s[14:15], 2
	v_mov_b32_e32 v2, 0
	v_mov_b32_e32 v23, v2
	;; [unrolled: 1-line block ×3, first 2 shown]
	s_and_b64 vcc, exec, s[0:1]
	v_mov_b32_e32 v22, v1
	v_mov_b32_e32 v24, v3
	s_cbranch_vccnz .LBB0_8
; %bb.1:
	s_load_dwordx2 s[0:1], s[4:5], 0x10
	s_add_u32 s2, s18, 8
	s_addc_u32 s3, s19, 0
	s_add_u32 s6, s16, 8
	v_mov_b32_e32 v1, 0
	s_addc_u32 s7, s17, 0
	v_mov_b32_e32 v2, 0
	s_waitcnt lgkmcnt(0)
	s_add_u32 s20, s0, 8
	v_mov_b32_e32 v23, v2
	v_mov_b32_e32 v8, v4
	s_addc_u32 s21, s1, 0
	s_mov_b64 s[22:23], 1
	v_mov_b32_e32 v22, v1
	v_mov_b32_e32 v7, v3
.LBB0_2:                                ; =>This Inner Loop Header: Depth=1
	s_load_dwordx2 s[24:25], s[20:21], 0x0
                                        ; implicit-def: $vgpr24_vgpr25
	s_waitcnt lgkmcnt(0)
	v_or_b32_e32 v6, s25, v8
	v_cmp_ne_u64_e32 vcc, 0, v[5:6]
	s_and_saveexec_b64 s[0:1], vcc
	s_xor_b64 s[26:27], exec, s[0:1]
	s_cbranch_execz .LBB0_4
; %bb.3:                                ;   in Loop: Header=BB0_2 Depth=1
	v_cvt_f32_u32_e32 v4, s24
	v_cvt_f32_u32_e32 v6, s25
	s_sub_u32 s0, 0, s24
	s_subb_u32 s1, 0, s25
	v_mac_f32_e32 v4, 0x4f800000, v6
	v_rcp_f32_e32 v4, v4
	v_mul_f32_e32 v4, 0x5f7ffffc, v4
	v_mul_f32_e32 v6, 0x2f800000, v4
	v_trunc_f32_e32 v6, v6
	v_mac_f32_e32 v4, 0xcf800000, v6
	v_cvt_u32_f32_e32 v6, v6
	v_cvt_u32_f32_e32 v4, v4
	v_mul_lo_u32 v9, s0, v6
	v_mul_hi_u32 v10, s0, v4
	v_mul_lo_u32 v12, s1, v4
	v_mul_lo_u32 v11, s0, v4
	v_add_u32_e32 v9, v10, v9
	v_add_u32_e32 v9, v9, v12
	v_mul_hi_u32 v10, v4, v11
	v_mul_lo_u32 v12, v4, v9
	v_mul_hi_u32 v14, v4, v9
	v_mul_hi_u32 v13, v6, v11
	v_mul_lo_u32 v11, v6, v11
	v_mul_hi_u32 v15, v6, v9
	v_add_co_u32_e32 v10, vcc, v10, v12
	v_addc_co_u32_e32 v12, vcc, 0, v14, vcc
	v_mul_lo_u32 v9, v6, v9
	v_add_co_u32_e32 v10, vcc, v10, v11
	v_addc_co_u32_e32 v10, vcc, v12, v13, vcc
	v_addc_co_u32_e32 v11, vcc, 0, v15, vcc
	v_add_co_u32_e32 v9, vcc, v10, v9
	v_addc_co_u32_e32 v10, vcc, 0, v11, vcc
	v_add_co_u32_e32 v4, vcc, v4, v9
	v_addc_co_u32_e32 v6, vcc, v6, v10, vcc
	v_mul_lo_u32 v9, s0, v6
	v_mul_hi_u32 v10, s0, v4
	v_mul_lo_u32 v11, s1, v4
	v_mul_lo_u32 v12, s0, v4
	v_add_u32_e32 v9, v10, v9
	v_add_u32_e32 v9, v9, v11
	v_mul_lo_u32 v13, v4, v9
	v_mul_hi_u32 v14, v4, v12
	v_mul_hi_u32 v15, v4, v9
	;; [unrolled: 1-line block ×3, first 2 shown]
	v_mul_lo_u32 v12, v6, v12
	v_mul_hi_u32 v10, v6, v9
	v_add_co_u32_e32 v13, vcc, v14, v13
	v_addc_co_u32_e32 v14, vcc, 0, v15, vcc
	v_mul_lo_u32 v9, v6, v9
	v_add_co_u32_e32 v12, vcc, v13, v12
	v_addc_co_u32_e32 v11, vcc, v14, v11, vcc
	v_addc_co_u32_e32 v10, vcc, 0, v10, vcc
	v_add_co_u32_e32 v9, vcc, v11, v9
	v_addc_co_u32_e32 v10, vcc, 0, v10, vcc
	v_add_co_u32_e32 v4, vcc, v4, v9
	v_addc_co_u32_e32 v6, vcc, v6, v10, vcc
	v_mad_u64_u32 v[9:10], s[0:1], v7, v6, 0
	v_mul_hi_u32 v11, v7, v4
	v_add_co_u32_e32 v13, vcc, v11, v9
	v_addc_co_u32_e32 v14, vcc, 0, v10, vcc
	v_mad_u64_u32 v[9:10], s[0:1], v8, v4, 0
	v_mad_u64_u32 v[11:12], s[0:1], v8, v6, 0
	v_add_co_u32_e32 v4, vcc, v13, v9
	v_addc_co_u32_e32 v4, vcc, v14, v10, vcc
	v_addc_co_u32_e32 v6, vcc, 0, v12, vcc
	v_add_co_u32_e32 v4, vcc, v4, v11
	v_addc_co_u32_e32 v6, vcc, 0, v6, vcc
	v_mul_lo_u32 v11, s25, v4
	v_mul_lo_u32 v12, s24, v6
	v_mad_u64_u32 v[9:10], s[0:1], s24, v4, 0
	v_add3_u32 v10, v10, v12, v11
	v_sub_u32_e32 v11, v8, v10
	v_mov_b32_e32 v12, s25
	v_sub_co_u32_e32 v9, vcc, v7, v9
	v_subb_co_u32_e64 v11, s[0:1], v11, v12, vcc
	v_subrev_co_u32_e64 v12, s[0:1], s24, v9
	v_subbrev_co_u32_e64 v11, s[0:1], 0, v11, s[0:1]
	v_cmp_le_u32_e64 s[0:1], s25, v11
	v_cndmask_b32_e64 v13, 0, -1, s[0:1]
	v_cmp_le_u32_e64 s[0:1], s24, v12
	v_cndmask_b32_e64 v12, 0, -1, s[0:1]
	v_cmp_eq_u32_e64 s[0:1], s25, v11
	v_cndmask_b32_e64 v11, v13, v12, s[0:1]
	v_add_co_u32_e64 v12, s[0:1], 2, v4
	v_addc_co_u32_e64 v13, s[0:1], 0, v6, s[0:1]
	v_add_co_u32_e64 v14, s[0:1], 1, v4
	v_addc_co_u32_e64 v15, s[0:1], 0, v6, s[0:1]
	v_subb_co_u32_e32 v10, vcc, v8, v10, vcc
	v_cmp_ne_u32_e64 s[0:1], 0, v11
	v_cmp_le_u32_e32 vcc, s25, v10
	v_cndmask_b32_e64 v11, v15, v13, s[0:1]
	v_cndmask_b32_e64 v13, 0, -1, vcc
	v_cmp_le_u32_e32 vcc, s24, v9
	v_cndmask_b32_e64 v9, 0, -1, vcc
	v_cmp_eq_u32_e32 vcc, s25, v10
	v_cndmask_b32_e32 v9, v13, v9, vcc
	v_cmp_ne_u32_e32 vcc, 0, v9
	v_cndmask_b32_e32 v25, v6, v11, vcc
	v_cndmask_b32_e64 v6, v14, v12, s[0:1]
	v_cndmask_b32_e32 v24, v4, v6, vcc
.LBB0_4:                                ;   in Loop: Header=BB0_2 Depth=1
	s_andn2_saveexec_b64 s[0:1], s[26:27]
	s_cbranch_execz .LBB0_6
; %bb.5:                                ;   in Loop: Header=BB0_2 Depth=1
	v_cvt_f32_u32_e32 v4, s24
	s_sub_i32 s26, 0, s24
	v_mov_b32_e32 v25, v5
	v_rcp_iflag_f32_e32 v4, v4
	v_mul_f32_e32 v4, 0x4f7ffffe, v4
	v_cvt_u32_f32_e32 v4, v4
	v_mul_lo_u32 v6, s26, v4
	v_mul_hi_u32 v6, v4, v6
	v_add_u32_e32 v4, v4, v6
	v_mul_hi_u32 v4, v7, v4
	v_mul_lo_u32 v6, v4, s24
	v_add_u32_e32 v9, 1, v4
	v_sub_u32_e32 v6, v7, v6
	v_subrev_u32_e32 v10, s24, v6
	v_cmp_le_u32_e32 vcc, s24, v6
	v_cndmask_b32_e32 v6, v6, v10, vcc
	v_cndmask_b32_e32 v4, v4, v9, vcc
	v_add_u32_e32 v9, 1, v4
	v_cmp_le_u32_e32 vcc, s24, v6
	v_cndmask_b32_e32 v24, v4, v9, vcc
.LBB0_6:                                ;   in Loop: Header=BB0_2 Depth=1
	s_or_b64 exec, exec, s[0:1]
	v_mul_lo_u32 v4, v25, s24
	v_mul_lo_u32 v6, v24, s25
	v_mad_u64_u32 v[9:10], s[0:1], v24, s24, 0
	s_load_dwordx2 s[0:1], s[6:7], 0x0
	s_load_dwordx2 s[24:25], s[2:3], 0x0
	v_add3_u32 v4, v10, v6, v4
	v_sub_co_u32_e32 v6, vcc, v7, v9
	v_subb_co_u32_e32 v4, vcc, v8, v4, vcc
	s_waitcnt lgkmcnt(0)
	v_mul_lo_u32 v7, s0, v4
	v_mul_lo_u32 v8, s1, v6
	v_mad_u64_u32 v[1:2], s[0:1], s0, v6, v[1:2]
	s_add_u32 s22, s22, 1
	s_addc_u32 s23, s23, 0
	s_add_u32 s2, s2, 8
	v_mul_lo_u32 v4, s24, v4
	v_mul_lo_u32 v9, s25, v6
	v_mad_u64_u32 v[22:23], s[0:1], s24, v6, v[22:23]
	v_add3_u32 v2, v8, v2, v7
	s_addc_u32 s3, s3, 0
	v_mov_b32_e32 v6, s14
	s_add_u32 s6, s6, 8
	v_mov_b32_e32 v7, s15
	s_addc_u32 s7, s7, 0
	v_cmp_ge_u64_e32 vcc, s[22:23], v[6:7]
	s_add_u32 s20, s20, 8
	v_add3_u32 v23, v9, v23, v4
	s_addc_u32 s21, s21, 0
	s_cbranch_vccnz .LBB0_8
; %bb.7:                                ;   in Loop: Header=BB0_2 Depth=1
	v_mov_b32_e32 v7, v24
	v_mov_b32_e32 v8, v25
	s_branch .LBB0_2
.LBB0_8:
	s_mov_b32 s0, 0x24924925
	v_mul_hi_u32 v4, v3, s0
	s_load_dwordx2 s[0:1], s[4:5], 0x28
	s_lshl_b64 s[6:7], s[14:15], 3
	s_add_u32 s2, s18, s6
	v_sub_u32_e32 v5, v3, v4
	v_lshrrev_b32_e32 v5, 1, v5
	v_add_u32_e32 v4, v5, v4
	v_lshrrev_b32_e32 v4, 2, v4
	v_mul_lo_u32 v4, v4, 7
	s_waitcnt lgkmcnt(0)
	v_cmp_gt_u64_e32 vcc, s[0:1], v[24:25]
	v_cmp_le_u64_e64 s[0:1], s[0:1], v[24:25]
	s_addc_u32 s3, s19, s7
	v_sub_u32_e32 v3, v3, v4
                                        ; implicit-def: $vgpr26
	s_and_saveexec_b64 s[4:5], s[0:1]
	s_xor_b64 s[0:1], exec, s[4:5]
; %bb.9:
	s_mov_b32 s4, 0x1c71c71d
	v_mul_hi_u32 v1, v0, s4
	v_mul_u32_u24_e32 v1, 9, v1
	v_sub_u32_e32 v26, v0, v1
                                        ; implicit-def: $vgpr0
                                        ; implicit-def: $vgpr1_vgpr2
; %bb.10:
	s_or_saveexec_b64 s[4:5], s[0:1]
	s_load_dwordx2 s[2:3], s[2:3], 0x0
	v_mul_u32_u24_e32 v6, 0x5b, v3
	v_lshlrev_b32_e32 v32, 3, v6
	s_xor_b64 exec, exec, s[4:5]
	s_cbranch_execz .LBB0_14
; %bb.11:
	s_add_u32 s0, s16, s6
	s_addc_u32 s1, s17, s7
	s_load_dwordx2 s[0:1], s[0:1], 0x0
	s_mov_b32 s6, 0x1c71c71d
	v_mul_hi_u32 v5, v0, s6
	s_waitcnt lgkmcnt(0)
	v_mul_lo_u32 v7, s1, v24
	v_mul_lo_u32 v8, s0, v25
	v_mad_u64_u32 v[3:4], s[0:1], s0, v24, 0
	v_mul_u32_u24_e32 v5, 9, v5
	v_sub_u32_e32 v26, v0, v5
	v_add3_u32 v4, v4, v8, v7
	v_lshlrev_b64 v[3:4], 3, v[3:4]
	v_mov_b32_e32 v0, s9
	v_add_co_u32_e64 v3, s[0:1], s8, v3
	v_addc_co_u32_e64 v4, s[0:1], v0, v4, s[0:1]
	v_lshlrev_b64 v[0:1], 3, v[1:2]
	v_lshlrev_b32_e32 v21, 3, v26
	v_add_co_u32_e64 v0, s[0:1], v3, v0
	v_addc_co_u32_e64 v1, s[0:1], v4, v1, s[0:1]
	v_add_co_u32_e64 v2, s[0:1], v0, v21
	v_addc_co_u32_e64 v3, s[0:1], 0, v1, s[0:1]
	global_load_dwordx2 v[4:5], v[2:3], off
	global_load_dwordx2 v[7:8], v[2:3], off offset:72
	global_load_dwordx2 v[9:10], v[2:3], off offset:144
	;; [unrolled: 1-line block ×9, first 2 shown]
	v_add3_u32 v2, 0, v32, v21
	v_cmp_eq_u32_e64 s[0:1], 8, v26
	s_waitcnt vmcnt(8)
	ds_write2_b64 v2, v[4:5], v[7:8] offset1:9
	s_waitcnt vmcnt(6)
	ds_write2_b64 v2, v[9:10], v[11:12] offset0:18 offset1:27
	s_waitcnt vmcnt(4)
	ds_write2_b64 v2, v[13:14], v[15:16] offset0:36 offset1:45
	;; [unrolled: 2-line block ×4, first 2 shown]
	s_and_saveexec_b64 s[6:7], s[0:1]
	s_cbranch_execz .LBB0_13
; %bb.12:
	global_load_dwordx2 v[0:1], v[0:1], off offset:720
	v_mov_b32_e32 v26, 8
	s_waitcnt vmcnt(0)
	ds_write_b64 v2, v[0:1] offset:656
.LBB0_13:
	s_or_b64 exec, exec, s[6:7]
.LBB0_14:
	s_or_b64 exec, exec, s[4:5]
	v_lshl_add_u32 v29, v6, 3, 0
	v_lshlrev_b32_e32 v0, 3, v26
	v_add_u32_e32 v31, v29, v0
	s_waitcnt lgkmcnt(0)
	; wave barrier
	s_waitcnt lgkmcnt(0)
	v_sub_u32_e32 v4, v29, v0
	ds_read_b32 v5, v31
	ds_read_b32 v7, v4 offset:720
	v_cmp_ne_u32_e64 s[0:1], 0, v26
                                        ; implicit-def: $vgpr2_vgpr3
	s_waitcnt lgkmcnt(0)
	v_add_f32_e32 v0, v7, v5
	v_sub_f32_e32 v1, v5, v7
	s_and_saveexec_b64 s[4:5], s[0:1]
	s_xor_b64 s[4:5], exec, s[4:5]
	s_cbranch_execz .LBB0_16
; %bb.15:
	v_mov_b32_e32 v27, 0
	v_lshlrev_b64 v[0:1], 3, v[26:27]
	v_mov_b32_e32 v2, s13
	v_add_co_u32_e64 v0, s[0:1], s12, v0
	v_addc_co_u32_e64 v1, s[0:1], v2, v1, s[0:1]
	global_load_dwordx2 v[2:3], v[0:1], off offset:696
	ds_read_b32 v0, v4 offset:724
	ds_read_b32 v1, v31 offset:4
	v_add_f32_e32 v8, v7, v5
	v_sub_f32_e32 v5, v5, v7
	s_waitcnt lgkmcnt(0)
	v_add_f32_e32 v9, v0, v1
	v_sub_f32_e32 v0, v1, v0
	s_waitcnt vmcnt(0)
	v_fma_f32 v10, v5, v3, v8
	v_fma_f32 v1, v9, v3, v0
	v_fma_f32 v7, -v5, v3, v8
	v_fma_f32 v8, v9, v3, -v0
	v_fma_f32 v0, -v2, v9, v10
	v_fmac_f32_e32 v1, v5, v2
	v_fmac_f32_e32 v7, v2, v9
	;; [unrolled: 1-line block ×3, first 2 shown]
	v_mov_b32_e32 v2, v26
	ds_write_b64 v4, v[7:8] offset:720
	v_mov_b32_e32 v3, v27
.LBB0_16:
	s_andn2_saveexec_b64 s[0:1], s[4:5]
	s_cbranch_execz .LBB0_18
; %bb.17:
	ds_read_b64 v[2:3], v29 offset:360
	s_waitcnt lgkmcnt(0)
	v_add_f32_e32 v7, v2, v2
	v_mul_f32_e32 v8, -2.0, v3
	v_mov_b32_e32 v2, 0
	v_mov_b32_e32 v3, 0
	ds_write_b64 v29, v[7:8] offset:360
.LBB0_18:
	s_or_b64 exec, exec, s[0:1]
	s_add_u32 s0, s12, 0x2b8
	v_lshlrev_b64 v[2:3], 3, v[2:3]
	s_addc_u32 s1, s13, 0
	v_mov_b32_e32 v5, s1
	v_add_co_u32_e64 v2, s[0:1], s0, v2
	v_addc_co_u32_e64 v3, s[0:1], v5, v3, s[0:1]
	global_load_dwordx2 v[7:8], v[2:3], off offset:72
	global_load_dwordx2 v[9:10], v[2:3], off offset:144
	;; [unrolled: 1-line block ×4, first 2 shown]
	ds_write_b64 v31, v[0:1]
	ds_read_b64 v[0:1], v31 offset:72
	ds_read_b64 v[2:3], v4 offset:648
	v_lshl_add_u32 v21, v26, 3, 0
	v_add_u32_e32 v30, v21, v32
	v_cmp_gt_u32_e64 s[0:1], 3, v26
	s_waitcnt lgkmcnt(0)
	v_add_f32_e32 v5, v0, v2
	v_add_f32_e32 v15, v3, v1
	v_sub_f32_e32 v16, v0, v2
	v_sub_f32_e32 v2, v1, v3
	s_waitcnt vmcnt(3)
	v_fma_f32 v17, v16, v8, v5
	v_fma_f32 v3, v15, v8, v2
	v_fma_f32 v0, -v16, v8, v5
	v_fma_f32 v1, v15, v8, -v2
	v_fma_f32 v2, -v7, v15, v17
	v_fmac_f32_e32 v3, v16, v7
	v_fmac_f32_e32 v0, v7, v15
	;; [unrolled: 1-line block ×3, first 2 shown]
	ds_write_b64 v31, v[2:3] offset:72
	ds_write_b64 v4, v[0:1] offset:648
	ds_read_b64 v[0:1], v31 offset:144
	ds_read_b64 v[2:3], v4 offset:576
	v_xor_b32_e32 v5, 63, v26
	v_lshl_add_u32 v5, v5, 3, v29
	s_waitcnt lgkmcnt(0)
	v_add_f32_e32 v7, v0, v2
	v_add_f32_e32 v8, v3, v1
	v_sub_f32_e32 v15, v0, v2
	v_sub_f32_e32 v2, v1, v3
	s_waitcnt vmcnt(2)
	v_fma_f32 v16, v15, v10, v7
	v_fma_f32 v3, v8, v10, v2
	v_fma_f32 v0, -v15, v10, v7
	v_fma_f32 v1, v8, v10, -v2
	v_fma_f32 v2, -v9, v8, v16
	v_fmac_f32_e32 v3, v15, v9
	v_fmac_f32_e32 v0, v9, v8
	;; [unrolled: 1-line block ×3, first 2 shown]
	ds_write_b64 v31, v[2:3] offset:144
	ds_write_b64 v4, v[0:1] offset:576
	ds_read_b64 v[0:1], v31 offset:216
	ds_read_b64 v[2:3], v5
	s_waitcnt lgkmcnt(0)
	v_add_f32_e32 v7, v0, v2
	v_add_f32_e32 v8, v3, v1
	v_sub_f32_e32 v9, v0, v2
	v_sub_f32_e32 v0, v1, v3
	s_waitcnt vmcnt(1)
	v_fma_f32 v10, v9, v12, v7
	v_fma_f32 v1, v8, v12, v0
	v_fma_f32 v2, -v9, v12, v7
	v_fma_f32 v3, v8, v12, -v0
	v_fma_f32 v0, -v11, v8, v10
	v_fmac_f32_e32 v1, v9, v11
	v_fmac_f32_e32 v2, v11, v8
	v_fmac_f32_e32 v3, v9, v11
	ds_write_b64 v31, v[0:1] offset:216
	ds_write_b64 v5, v[2:3]
	ds_read_b64 v[0:1], v31 offset:288
	ds_read_b64 v[2:3], v4 offset:432
	s_waitcnt lgkmcnt(0)
	v_add_f32_e32 v5, v0, v2
	v_add_f32_e32 v7, v3, v1
	v_sub_f32_e32 v8, v0, v2
	v_sub_f32_e32 v0, v1, v3
	s_waitcnt vmcnt(0)
	v_fma_f32 v9, v8, v14, v5
	v_fma_f32 v1, v7, v14, v0
	v_fma_f32 v2, -v8, v14, v5
	v_fma_f32 v3, v7, v14, -v0
	v_fma_f32 v0, -v13, v7, v9
	v_fmac_f32_e32 v1, v8, v13
	v_fmac_f32_e32 v2, v13, v7
	;; [unrolled: 1-line block ×3, first 2 shown]
	ds_write_b64 v31, v[0:1] offset:288
	ds_write_b64 v4, v[2:3] offset:432
	s_waitcnt lgkmcnt(0)
	; wave barrier
	s_waitcnt lgkmcnt(0)
	s_waitcnt lgkmcnt(0)
	; wave barrier
	s_waitcnt lgkmcnt(0)
	ds_read2_b64 v[7:10], v30 offset0:9 offset1:18
	ds_read2_b64 v[11:14], v30 offset0:39 offset1:48
	;; [unrolled: 1-line block ×3, first 2 shown]
	ds_read_b64 v[4:5], v31
	ds_read_b64 v[19:20], v30 offset:696
	ds_read2_b64 v[0:3], v30 offset0:27 offset1:30
	ds_read2_b64 v[33:36], v30 offset0:57 offset1:60
	s_waitcnt lgkmcnt(4)
	v_sub_f32_e32 v37, v12, v16
	v_add_f32_e32 v38, v8, v12
	v_add_f32_e32 v39, v12, v16
	v_sub_f32_e32 v42, v14, v18
	v_add_f32_e32 v12, v10, v14
	v_add_f32_e32 v43, v14, v18
	s_waitcnt lgkmcnt(0)
	v_add_f32_e32 v14, v2, v35
	v_add_f32_e32 v46, v3, v36
	;; [unrolled: 1-line block ×4, first 2 shown]
	v_sub_f32_e32 v40, v11, v15
	v_add_f32_e32 v11, v9, v13
	v_add_f32_e32 v41, v13, v17
	v_sub_f32_e32 v44, v13, v17
	v_add_f32_e32 v13, v4, v2
	v_add_f32_e32 v45, v5, v3
	v_fma_f32 v4, -0.5, v14, v4
	v_fmac_f32_e32 v5, -0.5, v46
	v_sub_f32_e32 v47, v3, v36
	v_sub_f32_e32 v48, v2, v35
	v_add_f32_e32 v2, v27, v15
	v_add_f32_e32 v3, v38, v16
	;; [unrolled: 1-line block ×3, first 2 shown]
	v_mov_b32_e32 v15, v4
	v_mov_b32_e32 v16, v5
	v_lshl_add_u32 v17, v26, 4, v21
	v_add_f32_e32 v12, v12, v18
	v_add_f32_e32 v13, v13, v35
	;; [unrolled: 1-line block ×3, first 2 shown]
	v_fmac_f32_e32 v15, 0xbf5db3d7, v47
	v_fmac_f32_e32 v16, 0x3f5db3d7, v48
	v_add_u32_e32 v18, v17, v32
	v_fma_f32 v7, -0.5, v28, v7
	v_fma_f32 v8, -0.5, v39, v8
	s_waitcnt lgkmcnt(0)
	; wave barrier
	ds_write2_b64 v18, v[13:14], v[15:16] offset1:1
	v_mov_b32_e32 v13, v7
	v_mov_b32_e32 v14, v8
	v_fmac_f32_e32 v13, 0xbf5db3d7, v37
	v_fmac_f32_e32 v14, 0x3f5db3d7, v40
	ds_write2_b64 v18, v[2:3], v[13:14] offset0:27 offset1:28
	v_fmac_f32_e32 v4, 0x3f5db3d7, v47
	v_fmac_f32_e32 v5, 0xbf5db3d7, v48
	;; [unrolled: 1-line block ×4, first 2 shown]
	v_fmac_f32_e32 v10, -0.5, v43
	v_fma_f32 v3, -0.5, v41, v9
	ds_write2_b64 v18, v[4:5], v[7:8] offset0:2 offset1:29
	v_add_u32_e32 v7, 0x1b0, v17
	v_mov_b32_e32 v4, v3
	v_mov_b32_e32 v5, v10
	v_add_u32_e32 v2, v7, v32
	v_fmac_f32_e32 v4, 0xbf5db3d7, v42
	v_fmac_f32_e32 v5, 0x3f5db3d7, v44
	;; [unrolled: 1-line block ×4, first 2 shown]
	ds_write_b64 v2, v[11:12]
	ds_write2_b32 v2, v4, v5 offset0:2 offset1:3
	ds_write2_b32 v2, v3, v10 offset0:4 offset1:5
	v_add_f32_e32 v3, v33, v19
	v_add_f32_e32 v2, v0, v33
	;; [unrolled: 1-line block ×3, first 2 shown]
	v_fma_f32 v0, -0.5, v3, v0
	v_sub_f32_e32 v5, v34, v20
	v_add_f32_e32 v8, v1, v34
	v_mov_b32_e32 v4, v0
	v_fmac_f32_e32 v1, -0.5, v9
	v_sub_f32_e32 v10, v33, v19
	v_fmac_f32_e32 v4, 0xbf5db3d7, v5
	v_fmac_f32_e32 v0, 0x3f5db3d7, v5
	v_mov_b32_e32 v5, v1
	v_add_f32_e32 v2, v2, v19
	v_add_f32_e32 v3, v8, v20
	v_fmac_f32_e32 v5, 0x3f5db3d7, v10
	v_fmac_f32_e32 v1, 0xbf5db3d7, v10
	s_and_saveexec_b64 s[4:5], s[0:1]
	s_cbranch_execz .LBB0_20
; %bb.19:
	v_lshl_add_u32 v6, v6, 3, v7
	ds_write2_b32 v6, v3, v4 offset0:55 offset1:56
	ds_write2_b32 v6, v2, v5 offset0:54 offset1:57
	;; [unrolled: 1-line block ×3, first 2 shown]
.LBB0_20:
	s_or_b64 exec, exec, s[4:5]
	s_waitcnt lgkmcnt(0)
	; wave barrier
	s_waitcnt lgkmcnt(0)
	ds_read_b64 v[27:28], v31
	ds_read2_b64 v[18:21], v30 offset0:30 offset1:39
	ds_read2_b64 v[10:13], v30 offset0:48 offset1:60
	;; [unrolled: 1-line block ×4, first 2 shown]
	s_and_saveexec_b64 s[4:5], s[0:1]
	s_cbranch_execz .LBB0_22
; %bb.21:
	ds_read2_b64 v[2:5], v30 offset0:27 offset1:57
	ds_read_b64 v[0:1], v30 offset:696
.LBB0_22:
	s_or_b64 exec, exec, s[4:5]
	s_movk_i32 s6, 0xab
	v_mul_lo_u16_sdwa v33, v26, s6 dst_sel:DWORD dst_unused:UNUSED_PAD src0_sel:BYTE_0 src1_sel:DWORD
	v_add_u16_e32 v34, 9, v26
	v_lshrrev_b16_e32 v46, 9, v33
	v_mul_lo_u16_sdwa v35, v34, s6 dst_sel:DWORD dst_unused:UNUSED_PAD src0_sel:BYTE_0 src1_sel:DWORD
	v_mul_lo_u16_e32 v33, 3, v46
	v_lshrrev_b16_e32 v48, 9, v35
	v_sub_u16_e32 v47, v26, v33
	v_mov_b32_e32 v33, 4
	v_mul_lo_u16_e32 v35, 3, v48
	v_lshlrev_b32_sdwa v42, v33, v47 dst_sel:DWORD dst_unused:UNUSED_PAD src0_sel:DWORD src1_sel:BYTE_0
	v_sub_u16_e32 v49, v34, v35
	v_lshlrev_b32_sdwa v43, v33, v49 dst_sel:DWORD dst_unused:UNUSED_PAD src0_sel:DWORD src1_sel:BYTE_0
	global_load_dwordx4 v[34:37], v42, s[12:13]
	global_load_dwordx4 v[38:41], v43, s[12:13]
	v_add_u16_e32 v42, 18, v26
	v_mul_lo_u16_sdwa v43, v42, s6 dst_sel:DWORD dst_unused:UNUSED_PAD src0_sel:BYTE_0 src1_sel:DWORD
	v_lshrrev_b16_e32 v50, 9, v43
	v_mul_lo_u16_e32 v43, 3, v50
	v_sub_u16_e32 v51, v42, v43
	v_lshlrev_b32_sdwa v42, v33, v51 dst_sel:DWORD dst_unused:UNUSED_PAD src0_sel:DWORD src1_sel:BYTE_0
	global_load_dwordx4 v[42:45], v42, s[12:13]
	s_movk_i32 s4, 0x48
	s_waitcnt lgkmcnt(0)
	; wave barrier
	s_waitcnt vmcnt(2) lgkmcnt(0)
	v_mul_f32_e32 v52, v35, v19
	v_mul_f32_e32 v53, v37, v13
	;; [unrolled: 1-line block ×4, first 2 shown]
	s_waitcnt vmcnt(1)
	v_mul_f32_e32 v54, v39, v21
	v_mul_f32_e32 v55, v41, v15
	v_fmac_f32_e32 v52, v34, v18
	v_fmac_f32_e32 v53, v36, v12
	v_mul_f32_e32 v39, v39, v20
	v_mul_f32_e32 v41, v41, v14
	s_waitcnt vmcnt(0)
	v_mul_f32_e32 v56, v43, v11
	v_mul_f32_e32 v43, v43, v10
	;; [unrolled: 1-line block ×3, first 2 shown]
	v_fma_f32 v18, v34, v19, -v35
	v_fma_f32 v12, v36, v13, -v37
	v_fmac_f32_e32 v54, v38, v20
	v_fmac_f32_e32 v55, v40, v14
	v_add_f32_e32 v14, v52, v53
	v_mul_f32_e32 v45, v45, v16
	v_fma_f32 v13, v38, v21, -v39
	v_fma_f32 v15, v40, v15, -v41
	v_fmac_f32_e32 v56, v42, v10
	v_fma_f32 v10, v42, v11, -v43
	v_fmac_f32_e32 v57, v44, v16
	v_add_f32_e32 v11, v27, v52
	v_sub_f32_e32 v36, v18, v12
	v_add_f32_e32 v16, v28, v18
	v_add_f32_e32 v18, v18, v12
	v_add_f32_e32 v20, v54, v55
	v_fma_f32 v27, -0.5, v14, v27
	v_fma_f32 v17, v44, v17, -v45
	v_add_f32_e32 v19, v6, v54
	v_add_f32_e32 v21, v7, v13
	v_add_f32_e32 v34, v13, v15
	v_fmac_f32_e32 v28, -0.5, v18
	v_fma_f32 v14, -0.5, v20, v6
	v_mov_b32_e32 v18, v27
	v_mov_b32_e32 v6, 3
	v_sub_f32_e32 v37, v52, v53
	v_sub_f32_e32 v38, v13, v15
	;; [unrolled: 1-line block ×3, first 2 shown]
	v_add_f32_e32 v42, v9, v10
	v_add_f32_e32 v43, v10, v17
	;; [unrolled: 1-line block ×6, first 2 shown]
	v_fma_f32 v15, -0.5, v34, v7
	v_fmac_f32_e32 v27, 0x3f5db3d7, v36
	v_mov_b32_e32 v19, v28
	v_fmac_f32_e32 v18, 0xbf5db3d7, v36
	v_mad_u32_u24 v7, v46, s4, 0
	v_lshlrev_b32_sdwa v36, v6, v47 dst_sel:DWORD dst_unused:UNUSED_PAD src0_sel:DWORD src1_sel:BYTE_0
	v_fmac_f32_e32 v19, 0x3f5db3d7, v37
	v_add3_u32 v7, v7, v36, v32
	v_sub_f32_e32 v39, v54, v55
	v_add_f32_e32 v40, v56, v57
	v_fmac_f32_e32 v28, 0xbf5db3d7, v37
	v_mov_b32_e32 v20, v14
	v_mov_b32_e32 v21, v15
	ds_write2_b64 v7, v[10:11], v[18:19] offset1:3
	ds_write_b64 v7, v[27:28] offset:48
	v_mad_u32_u24 v7, v48, s4, 0
	v_lshlrev_b32_sdwa v10, v6, v49 dst_sel:DWORD dst_unused:UNUSED_PAD src0_sel:DWORD src1_sel:BYTE_0
	v_add_f32_e32 v35, v8, v56
	v_fma_f32 v8, -0.5, v40, v8
	v_fmac_f32_e32 v9, -0.5, v43
	v_fmac_f32_e32 v20, 0xbf5db3d7, v38
	v_fmac_f32_e32 v21, 0x3f5db3d7, v39
	v_add3_u32 v7, v7, v10, v32
	v_sub_f32_e32 v44, v56, v57
	v_add_f32_e32 v16, v35, v57
	v_fmac_f32_e32 v14, 0x3f5db3d7, v38
	v_fmac_f32_e32 v15, 0xbf5db3d7, v39
	v_mov_b32_e32 v34, v8
	v_mov_b32_e32 v35, v9
	ds_write2_b64 v7, v[12:13], v[20:21] offset1:3
	ds_write_b64 v7, v[14:15] offset:48
	v_mad_u32_u24 v7, v50, s4, 0
	v_lshlrev_b32_sdwa v10, v6, v51 dst_sel:DWORD dst_unused:UNUSED_PAD src0_sel:DWORD src1_sel:BYTE_0
	v_add_f32_e32 v17, v42, v17
	v_fmac_f32_e32 v34, 0xbf5db3d7, v41
	v_fmac_f32_e32 v35, 0x3f5db3d7, v44
	v_add3_u32 v7, v7, v10, v32
	v_fmac_f32_e32 v8, 0x3f5db3d7, v41
	v_fmac_f32_e32 v9, 0xbf5db3d7, v44
	ds_write2_b64 v7, v[16:17], v[34:35] offset1:3
	ds_write_b64 v7, v[8:9] offset:48
	s_and_saveexec_b64 s[4:5], s[0:1]
	s_cbranch_execz .LBB0_24
; %bb.23:
	v_add_u16_e32 v7, 27, v26
	v_mul_lo_u16_sdwa v8, v7, s6 dst_sel:DWORD dst_unused:UNUSED_PAD src0_sel:BYTE_0 src1_sel:DWORD
	v_lshrrev_b16_e32 v8, 9, v8
	v_mul_lo_u16_e32 v8, 3, v8
	v_sub_u16_e32 v11, v7, v8
	v_lshlrev_b32_sdwa v7, v33, v11 dst_sel:DWORD dst_unused:UNUSED_PAD src0_sel:DWORD src1_sel:BYTE_0
	global_load_dwordx4 v[7:10], v7, s[12:13]
	v_lshlrev_b32_sdwa v6, v6, v11 dst_sel:DWORD dst_unused:UNUSED_PAD src0_sel:DWORD src1_sel:BYTE_0
	v_add3_u32 v6, 0, v6, v32
	s_waitcnt vmcnt(0)
	v_mul_f32_e32 v11, v4, v8
	v_mul_f32_e32 v12, v0, v10
	;; [unrolled: 1-line block ×4, first 2 shown]
	v_fma_f32 v5, v5, v7, -v11
	v_fma_f32 v11, v1, v9, -v12
	v_fmac_f32_e32 v8, v4, v7
	v_fmac_f32_e32 v10, v0, v9
	v_add_f32_e32 v0, v5, v11
	v_add_f32_e32 v9, v8, v10
	v_sub_f32_e32 v7, v8, v10
	v_add_f32_e32 v4, v3, v5
	v_sub_f32_e32 v12, v5, v11
	v_add_f32_e32 v5, v2, v8
	v_fma_f32 v1, -0.5, v0, v3
	v_fma_f32 v0, -0.5, v9, v2
	v_add_f32_e32 v3, v4, v11
	v_add_f32_e32 v2, v5, v10
	v_mov_b32_e32 v5, v1
	v_fmac_f32_e32 v1, 0x3f5db3d7, v7
	v_mov_b32_e32 v4, v0
	v_fmac_f32_e32 v0, 0xbf5db3d7, v12
	v_fmac_f32_e32 v5, 0xbf5db3d7, v7
	;; [unrolled: 1-line block ×3, first 2 shown]
	ds_write2_b64 v6, v[2:3], v[0:1] offset0:81 offset1:84
	ds_write_b64 v6, v[4:5] offset:696
.LBB0_24:
	s_or_b64 exec, exec, s[4:5]
	v_mul_u32_u24_e32 v0, 9, v26
	v_lshlrev_b32_e32 v16, 3, v0
	s_waitcnt lgkmcnt(0)
	; wave barrier
	s_waitcnt lgkmcnt(0)
	global_load_dwordx4 v[0:3], v16, s[12:13] offset:48
	global_load_dwordx4 v[4:7], v16, s[12:13] offset:64
	;; [unrolled: 1-line block ×4, first 2 shown]
	global_load_dwordx2 v[20:21], v16, s[12:13] offset:112
	ds_read2_b64 v[16:19], v30 offset0:9 offset1:18
	ds_read2_b64 v[32:35], v30 offset0:27 offset1:36
	ds_read2_b64 v[36:39], v30 offset0:45 offset1:54
	ds_read2_b64 v[40:43], v30 offset0:63 offset1:72
	ds_read_b64 v[27:28], v31
	ds_read_b64 v[44:45], v30 offset:648
	s_waitcnt lgkmcnt(0)
	; wave barrier
	s_waitcnt vmcnt(4) lgkmcnt(0)
	v_mul_f32_e32 v31, v1, v17
	s_waitcnt vmcnt(3)
	v_mul_f32_e32 v48, v7, v35
	s_waitcnt vmcnt(2)
	v_mul_f32_e32 v50, v39, v11
	v_mul_f32_e32 v1, v1, v16
	;; [unrolled: 1-line block ×6, first 2 shown]
	s_waitcnt vmcnt(1)
	v_mul_f32_e32 v52, v43, v15
	v_fmac_f32_e32 v48, v6, v34
	v_fmac_f32_e32 v50, v38, v10
	v_mul_f32_e32 v47, v5, v33
	v_mul_f32_e32 v5, v5, v32
	;; [unrolled: 1-line block ×7, first 2 shown]
	s_waitcnt vmcnt(0)
	v_mul_f32_e32 v53, v45, v21
	v_mul_f32_e32 v21, v44, v21
	v_fmac_f32_e32 v31, v0, v16
	v_fma_f32 v16, v0, v17, -v1
	v_fmac_f32_e32 v46, v2, v18
	v_fma_f32 v0, v2, v19, -v3
	v_fma_f32 v3, v8, v37, -v9
	v_fmac_f32_e32 v52, v42, v14
	v_add_f32_e32 v9, v48, v50
	v_fmac_f32_e32 v47, v4, v32
	v_fma_f32 v1, v4, v33, -v5
	v_fma_f32 v2, v6, v35, -v7
	;; [unrolled: 1-line block ×3, first 2 shown]
	v_fmac_f32_e32 v51, v40, v12
	v_fma_f32 v5, v41, v12, -v13
	v_fma_f32 v6, v43, v14, -v15
	;; [unrolled: 1-line block ×3, first 2 shown]
	v_sub_f32_e32 v12, v46, v48
	v_sub_f32_e32 v13, v52, v50
	v_add_f32_e32 v14, v46, v52
	v_sub_f32_e32 v15, v48, v46
	v_sub_f32_e32 v17, v50, v52
	v_fma_f32 v21, -0.5, v9, v27
	v_fmac_f32_e32 v49, v8, v36
	v_add_f32_e32 v8, v27, v46
	v_sub_f32_e32 v10, v0, v6
	v_add_f32_e32 v19, v2, v4
	v_add_f32_e32 v9, v12, v13
	v_fma_f32 v13, -0.5, v14, v27
	v_add_f32_e32 v12, v15, v17
	v_mov_b32_e32 v15, v21
	v_sub_f32_e32 v11, v2, v4
	v_add_f32_e32 v8, v8, v48
	v_fma_f32 v19, -0.5, v19, v28
	v_fmac_f32_e32 v21, 0x3f737871, v10
	v_mov_b32_e32 v17, v13
	v_fmac_f32_e32 v15, 0xbf737871, v10
	v_fmac_f32_e32 v53, v44, v20
	v_add_f32_e32 v18, v28, v0
	v_sub_f32_e32 v20, v46, v52
	v_add_f32_e32 v8, v8, v50
	v_fmac_f32_e32 v13, 0xbf737871, v11
	v_mov_b32_e32 v27, v19
	v_fmac_f32_e32 v21, 0x3f167918, v11
	v_fmac_f32_e32 v17, 0x3f737871, v11
	;; [unrolled: 1-line block ×3, first 2 shown]
	v_add_f32_e32 v14, v18, v2
	v_add_f32_e32 v18, v8, v52
	v_fmac_f32_e32 v13, 0x3f167918, v10
	v_fmac_f32_e32 v27, 0x3f737871, v20
	;; [unrolled: 1-line block ×5, first 2 shown]
	v_sub_f32_e32 v8, v48, v50
	v_sub_f32_e32 v9, v0, v2
	;; [unrolled: 1-line block ×3, first 2 shown]
	v_fmac_f32_e32 v19, 0xbf737871, v20
	v_fmac_f32_e32 v27, 0x3f167918, v8
	v_add_f32_e32 v9, v9, v10
	v_fmac_f32_e32 v19, 0xbf167918, v8
	v_fmac_f32_e32 v27, 0x3e9e377a, v9
	;; [unrolled: 1-line block ×3, first 2 shown]
	v_add_f32_e32 v9, v0, v6
	v_fmac_f32_e32 v28, -0.5, v9
	v_mov_b32_e32 v33, v28
	v_fmac_f32_e32 v33, 0xbf737871, v8
	v_sub_f32_e32 v0, v2, v0
	v_sub_f32_e32 v2, v4, v6
	v_fmac_f32_e32 v28, 0x3f737871, v8
	v_fmac_f32_e32 v33, 0x3f167918, v20
	v_add_f32_e32 v0, v0, v2
	v_fmac_f32_e32 v28, 0xbf167918, v20
	v_fmac_f32_e32 v33, 0x3e9e377a, v0
	;; [unrolled: 1-line block ×3, first 2 shown]
	v_add_f32_e32 v0, v31, v47
	v_add_f32_e32 v0, v0, v49
	;; [unrolled: 1-line block ×5, first 2 shown]
	v_fma_f32 v9, -0.5, v0, v31
	v_add_f32_e32 v14, v14, v4
	v_sub_f32_e32 v0, v1, v7
	v_mov_b32_e32 v11, v9
	v_add_f32_e32 v32, v14, v6
	v_fmac_f32_e32 v11, 0xbf737871, v0
	v_sub_f32_e32 v2, v3, v5
	v_sub_f32_e32 v4, v47, v49
	v_sub_f32_e32 v6, v53, v51
	v_fmac_f32_e32 v9, 0x3f737871, v0
	v_fmac_f32_e32 v11, 0xbf167918, v2
	v_add_f32_e32 v4, v4, v6
	v_fmac_f32_e32 v9, 0x3f167918, v2
	v_fmac_f32_e32 v11, 0x3e9e377a, v4
	;; [unrolled: 1-line block ×3, first 2 shown]
	v_add_f32_e32 v4, v47, v53
	v_fmac_f32_e32 v31, -0.5, v4
	v_fmac_f32_e32 v13, 0x3e9e377a, v12
	v_fmac_f32_e32 v17, 0x3e9e377a, v12
	v_mov_b32_e32 v12, v31
	v_fmac_f32_e32 v12, 0x3f737871, v2
	v_fmac_f32_e32 v31, 0xbf737871, v2
	v_fmac_f32_e32 v12, 0xbf167918, v0
	v_fmac_f32_e32 v31, 0x3f167918, v0
	v_add_f32_e32 v0, v16, v1
	v_add_f32_e32 v0, v0, v3
	;; [unrolled: 1-line block ×5, first 2 shown]
	v_sub_f32_e32 v4, v49, v47
	v_sub_f32_e32 v6, v51, v53
	v_fma_f32 v14, -0.5, v0, v16
	v_add_f32_e32 v4, v4, v6
	v_sub_f32_e32 v0, v47, v53
	v_mov_b32_e32 v34, v14
	v_fmac_f32_e32 v12, 0x3e9e377a, v4
	v_fmac_f32_e32 v31, 0x3e9e377a, v4
	;; [unrolled: 1-line block ×3, first 2 shown]
	v_sub_f32_e32 v2, v49, v51
	v_sub_f32_e32 v4, v1, v3
	;; [unrolled: 1-line block ×3, first 2 shown]
	v_fmac_f32_e32 v14, 0xbf737871, v0
	v_fmac_f32_e32 v34, 0x3f167918, v2
	v_add_f32_e32 v4, v4, v6
	v_fmac_f32_e32 v14, 0xbf167918, v2
	v_fmac_f32_e32 v34, 0x3e9e377a, v4
	;; [unrolled: 1-line block ×3, first 2 shown]
	v_add_f32_e32 v4, v1, v7
	v_fmac_f32_e32 v16, -0.5, v4
	v_mov_b32_e32 v35, v16
	v_sub_f32_e32 v1, v3, v1
	v_sub_f32_e32 v3, v5, v7
	v_fmac_f32_e32 v16, 0x3f737871, v2
	v_fmac_f32_e32 v35, 0xbf737871, v2
	v_add_f32_e32 v1, v1, v3
	v_fmac_f32_e32 v16, 0xbf167918, v0
	v_fmac_f32_e32 v35, 0x3f167918, v0
	;; [unrolled: 1-line block ×4, first 2 shown]
	v_mul_f32_e32 v36, 0xbf167918, v34
	v_mul_f32_e32 v38, 0xbf737871, v16
	;; [unrolled: 1-line block ×4, first 2 shown]
	v_fmac_f32_e32 v36, 0x3f4f1bbd, v11
	v_mul_f32_e32 v37, 0xbf737871, v35
	v_fmac_f32_e32 v38, 0xbe9e377a, v31
	v_mul_f32_e32 v39, 0xbf167918, v14
	;; [unrolled: 2-line block ×4, first 2 shown]
	v_add_f32_e32 v0, v18, v10
	v_add_f32_e32 v2, v15, v36
	v_fmac_f32_e32 v37, 0x3e9e377a, v12
	v_fmac_f32_e32 v39, 0xbf4f1bbd, v9
	v_add_f32_e32 v1, v32, v20
	v_add_f32_e32 v3, v27, v34
	v_fmac_f32_e32 v35, 0x3f737871, v12
	v_fmac_f32_e32 v31, 0x3f167918, v9
	v_add_f32_e32 v4, v17, v37
	v_add_f32_e32 v6, v13, v38
	v_add_f32_e32 v8, v21, v39
	v_add_f32_e32 v5, v33, v35
	v_add_f32_e32 v7, v28, v40
	v_add_f32_e32 v9, v19, v31
	v_sub_f32_e32 v10, v18, v10
	v_sub_f32_e32 v12, v15, v36
	;; [unrolled: 1-line block ×10, first 2 shown]
	ds_write2_b64 v30, v[0:1], v[2:3] offset1:9
	ds_write2_b64 v30, v[4:5], v[6:7] offset0:18 offset1:27
	ds_write2_b64 v30, v[8:9], v[10:11] offset0:36 offset1:45
	;; [unrolled: 1-line block ×4, first 2 shown]
	s_waitcnt lgkmcnt(0)
	; wave barrier
	s_waitcnt lgkmcnt(0)
	s_and_saveexec_b64 s[0:1], vcc
	s_cbranch_execz .LBB0_26
; %bb.25:
	v_mul_lo_u32 v0, s3, v24
	v_mul_lo_u32 v1, s2, v25
	v_mad_u64_u32 v[4:5], s[0:1], s2, v24, 0
	v_mov_b32_e32 v7, s11
	v_lshl_add_u32 v6, v26, 3, v29
	v_add3_u32 v5, v5, v1, v0
	v_lshlrev_b64 v[4:5], 3, v[4:5]
	v_mov_b32_e32 v27, 0
	v_add_co_u32_e32 v8, vcc, s10, v4
	v_addc_co_u32_e32 v7, vcc, v7, v5, vcc
	v_lshlrev_b64 v[4:5], 3, v[22:23]
	ds_read2_b64 v[0:3], v6 offset1:9
	v_add_co_u32_e32 v8, vcc, v8, v4
	v_addc_co_u32_e32 v7, vcc, v7, v5, vcc
	v_lshlrev_b64 v[4:5], 3, v[26:27]
	v_add_co_u32_e32 v4, vcc, v8, v4
	v_addc_co_u32_e32 v5, vcc, v7, v5, vcc
	s_waitcnt lgkmcnt(0)
	global_store_dwordx2 v[4:5], v[0:1], off
	v_add_u32_e32 v0, 9, v26
	v_mov_b32_e32 v1, v27
	v_lshlrev_b64 v[0:1], 3, v[0:1]
	v_add_u32_e32 v4, 18, v26
	v_add_co_u32_e32 v0, vcc, v8, v0
	v_addc_co_u32_e32 v1, vcc, v7, v1, vcc
	global_store_dwordx2 v[0:1], v[2:3], off
	v_mov_b32_e32 v5, v27
	ds_read2_b64 v[0:3], v6 offset0:18 offset1:27
	v_lshlrev_b64 v[4:5], 3, v[4:5]
	v_add_co_u32_e32 v4, vcc, v8, v4
	v_addc_co_u32_e32 v5, vcc, v7, v5, vcc
	s_waitcnt lgkmcnt(0)
	global_store_dwordx2 v[4:5], v[0:1], off
	v_add_u32_e32 v0, 27, v26
	v_mov_b32_e32 v1, v27
	v_lshlrev_b64 v[0:1], 3, v[0:1]
	v_add_u32_e32 v4, 36, v26
	v_add_co_u32_e32 v0, vcc, v8, v0
	v_addc_co_u32_e32 v1, vcc, v7, v1, vcc
	global_store_dwordx2 v[0:1], v[2:3], off
	v_mov_b32_e32 v5, v27
	ds_read2_b64 v[0:3], v6 offset0:36 offset1:45
	;; [unrolled: 14-line block ×4, first 2 shown]
	v_lshlrev_b64 v[4:5], 3, v[4:5]
	v_add_u32_e32 v26, 0x51, v26
	v_add_co_u32_e32 v4, vcc, v8, v4
	v_addc_co_u32_e32 v5, vcc, v7, v5, vcc
	s_waitcnt lgkmcnt(0)
	global_store_dwordx2 v[4:5], v[0:1], off
	v_lshlrev_b64 v[0:1], 3, v[26:27]
	v_add_co_u32_e32 v0, vcc, v8, v0
	v_addc_co_u32_e32 v1, vcc, v7, v1, vcc
	global_store_dwordx2 v[0:1], v[2:3], off
.LBB0_26:
	s_endpgm
	.section	.rodata,"a",@progbits
	.p2align	6, 0x0
	.amdhsa_kernel fft_rtc_back_len90_factors_3_3_10_wgs_63_tpt_9_halfLds_sp_op_CI_CI_unitstride_sbrr_C2R_dirReg
		.amdhsa_group_segment_fixed_size 0
		.amdhsa_private_segment_fixed_size 0
		.amdhsa_kernarg_size 104
		.amdhsa_user_sgpr_count 6
		.amdhsa_user_sgpr_private_segment_buffer 1
		.amdhsa_user_sgpr_dispatch_ptr 0
		.amdhsa_user_sgpr_queue_ptr 0
		.amdhsa_user_sgpr_kernarg_segment_ptr 1
		.amdhsa_user_sgpr_dispatch_id 0
		.amdhsa_user_sgpr_flat_scratch_init 0
		.amdhsa_user_sgpr_private_segment_size 0
		.amdhsa_uses_dynamic_stack 0
		.amdhsa_system_sgpr_private_segment_wavefront_offset 0
		.amdhsa_system_sgpr_workgroup_id_x 1
		.amdhsa_system_sgpr_workgroup_id_y 0
		.amdhsa_system_sgpr_workgroup_id_z 0
		.amdhsa_system_sgpr_workgroup_info 0
		.amdhsa_system_vgpr_workitem_id 0
		.amdhsa_next_free_vgpr 58
		.amdhsa_next_free_sgpr 28
		.amdhsa_reserve_vcc 1
		.amdhsa_reserve_flat_scratch 0
		.amdhsa_float_round_mode_32 0
		.amdhsa_float_round_mode_16_64 0
		.amdhsa_float_denorm_mode_32 3
		.amdhsa_float_denorm_mode_16_64 3
		.amdhsa_dx10_clamp 1
		.amdhsa_ieee_mode 1
		.amdhsa_fp16_overflow 0
		.amdhsa_exception_fp_ieee_invalid_op 0
		.amdhsa_exception_fp_denorm_src 0
		.amdhsa_exception_fp_ieee_div_zero 0
		.amdhsa_exception_fp_ieee_overflow 0
		.amdhsa_exception_fp_ieee_underflow 0
		.amdhsa_exception_fp_ieee_inexact 0
		.amdhsa_exception_int_div_zero 0
	.end_amdhsa_kernel
	.text
.Lfunc_end0:
	.size	fft_rtc_back_len90_factors_3_3_10_wgs_63_tpt_9_halfLds_sp_op_CI_CI_unitstride_sbrr_C2R_dirReg, .Lfunc_end0-fft_rtc_back_len90_factors_3_3_10_wgs_63_tpt_9_halfLds_sp_op_CI_CI_unitstride_sbrr_C2R_dirReg
                                        ; -- End function
	.section	.AMDGPU.csdata,"",@progbits
; Kernel info:
; codeLenInByte = 5600
; NumSgprs: 32
; NumVgprs: 58
; ScratchSize: 0
; MemoryBound: 0
; FloatMode: 240
; IeeeMode: 1
; LDSByteSize: 0 bytes/workgroup (compile time only)
; SGPRBlocks: 3
; VGPRBlocks: 14
; NumSGPRsForWavesPerEU: 32
; NumVGPRsForWavesPerEU: 58
; Occupancy: 4
; WaveLimiterHint : 1
; COMPUTE_PGM_RSRC2:SCRATCH_EN: 0
; COMPUTE_PGM_RSRC2:USER_SGPR: 6
; COMPUTE_PGM_RSRC2:TRAP_HANDLER: 0
; COMPUTE_PGM_RSRC2:TGID_X_EN: 1
; COMPUTE_PGM_RSRC2:TGID_Y_EN: 0
; COMPUTE_PGM_RSRC2:TGID_Z_EN: 0
; COMPUTE_PGM_RSRC2:TIDIG_COMP_CNT: 0
	.type	__hip_cuid_64d808803f9bea1f,@object ; @__hip_cuid_64d808803f9bea1f
	.section	.bss,"aw",@nobits
	.globl	__hip_cuid_64d808803f9bea1f
__hip_cuid_64d808803f9bea1f:
	.byte	0                               ; 0x0
	.size	__hip_cuid_64d808803f9bea1f, 1

	.ident	"AMD clang version 19.0.0git (https://github.com/RadeonOpenCompute/llvm-project roc-6.4.0 25133 c7fe45cf4b819c5991fe208aaa96edf142730f1d)"
	.section	".note.GNU-stack","",@progbits
	.addrsig
	.addrsig_sym __hip_cuid_64d808803f9bea1f
	.amdgpu_metadata
---
amdhsa.kernels:
  - .args:
      - .actual_access:  read_only
        .address_space:  global
        .offset:         0
        .size:           8
        .value_kind:     global_buffer
      - .offset:         8
        .size:           8
        .value_kind:     by_value
      - .actual_access:  read_only
        .address_space:  global
        .offset:         16
        .size:           8
        .value_kind:     global_buffer
      - .actual_access:  read_only
        .address_space:  global
        .offset:         24
        .size:           8
        .value_kind:     global_buffer
      - .actual_access:  read_only
        .address_space:  global
        .offset:         32
        .size:           8
        .value_kind:     global_buffer
      - .offset:         40
        .size:           8
        .value_kind:     by_value
      - .actual_access:  read_only
        .address_space:  global
        .offset:         48
        .size:           8
        .value_kind:     global_buffer
      - .actual_access:  read_only
        .address_space:  global
        .offset:         56
        .size:           8
        .value_kind:     global_buffer
      - .offset:         64
        .size:           4
        .value_kind:     by_value
      - .actual_access:  read_only
        .address_space:  global
        .offset:         72
        .size:           8
        .value_kind:     global_buffer
      - .actual_access:  read_only
        .address_space:  global
        .offset:         80
        .size:           8
        .value_kind:     global_buffer
      - .actual_access:  read_only
        .address_space:  global
        .offset:         88
        .size:           8
        .value_kind:     global_buffer
      - .actual_access:  write_only
        .address_space:  global
        .offset:         96
        .size:           8
        .value_kind:     global_buffer
    .group_segment_fixed_size: 0
    .kernarg_segment_align: 8
    .kernarg_segment_size: 104
    .language:       OpenCL C
    .language_version:
      - 2
      - 0
    .max_flat_workgroup_size: 63
    .name:           fft_rtc_back_len90_factors_3_3_10_wgs_63_tpt_9_halfLds_sp_op_CI_CI_unitstride_sbrr_C2R_dirReg
    .private_segment_fixed_size: 0
    .sgpr_count:     32
    .sgpr_spill_count: 0
    .symbol:         fft_rtc_back_len90_factors_3_3_10_wgs_63_tpt_9_halfLds_sp_op_CI_CI_unitstride_sbrr_C2R_dirReg.kd
    .uniform_work_group_size: 1
    .uses_dynamic_stack: false
    .vgpr_count:     58
    .vgpr_spill_count: 0
    .wavefront_size: 64
amdhsa.target:   amdgcn-amd-amdhsa--gfx906
amdhsa.version:
  - 1
  - 2
...

	.end_amdgpu_metadata
